;; amdgpu-corpus repo=ROCm/rocFFT kind=compiled arch=gfx906 opt=O3
	.text
	.amdgcn_target "amdgcn-amd-amdhsa--gfx906"
	.amdhsa_code_object_version 6
	.protected	fft_rtc_fwd_len297_factors_9_3_11_wgs_231_tpt_33_halfLds_half_op_CI_CI_unitstride_sbrr_dirReg ; -- Begin function fft_rtc_fwd_len297_factors_9_3_11_wgs_231_tpt_33_halfLds_half_op_CI_CI_unitstride_sbrr_dirReg
	.globl	fft_rtc_fwd_len297_factors_9_3_11_wgs_231_tpt_33_halfLds_half_op_CI_CI_unitstride_sbrr_dirReg
	.p2align	8
	.type	fft_rtc_fwd_len297_factors_9_3_11_wgs_231_tpt_33_halfLds_half_op_CI_CI_unitstride_sbrr_dirReg,@function
fft_rtc_fwd_len297_factors_9_3_11_wgs_231_tpt_33_halfLds_half_op_CI_CI_unitstride_sbrr_dirReg: ; @fft_rtc_fwd_len297_factors_9_3_11_wgs_231_tpt_33_halfLds_half_op_CI_CI_unitstride_sbrr_dirReg
; %bb.0:
	v_mul_u32_u24_e32 v1, 0x7c2, v0
	s_load_dwordx4 s[8:11], s[4:5], 0x58
	s_load_dwordx4 s[12:15], s[4:5], 0x0
	;; [unrolled: 1-line block ×3, first 2 shown]
	v_lshrrev_b32_e32 v1, 16, v1
	v_mad_u64_u32 v[6:7], s[0:1], s6, 7, v[1:2]
	v_mov_b32_e32 v3, 0
	s_waitcnt lgkmcnt(0)
	v_cmp_lt_u64_e64 s[0:1], s[14:15], 2
	v_mov_b32_e32 v8, 0
	v_mov_b32_e32 v7, v3
	;; [unrolled: 1-line block ×5, first 2 shown]
	s_and_b64 vcc, exec, s[0:1]
	v_mov_b32_e32 v2, v9
	v_mov_b32_e32 v5, v7
	s_cbranch_vccnz .LBB0_8
; %bb.1:
	s_load_dwordx2 s[0:1], s[4:5], 0x10
	s_add_u32 s2, s18, 8
	s_addc_u32 s3, s19, 0
	s_add_u32 s6, s16, 8
	s_addc_u32 s7, s17, 0
	v_mov_b32_e32 v8, 0
	s_waitcnt lgkmcnt(0)
	s_add_u32 s20, s0, 8
	v_mov_b32_e32 v9, 0
	v_mov_b32_e32 v1, v8
	;; [unrolled: 1-line block ×3, first 2 shown]
	s_addc_u32 s21, s1, 0
	s_mov_b64 s[22:23], 1
	v_mov_b32_e32 v2, v9
	v_mov_b32_e32 v10, v6
.LBB0_2:                                ; =>This Inner Loop Header: Depth=1
	s_load_dwordx2 s[24:25], s[20:21], 0x0
	s_waitcnt lgkmcnt(0)
	v_or_b32_e32 v4, s25, v11
	v_cmp_ne_u64_e32 vcc, 0, v[3:4]
                                        ; implicit-def: $vgpr4_vgpr5
	s_and_saveexec_b64 s[0:1], vcc
	s_xor_b64 s[26:27], exec, s[0:1]
	s_cbranch_execz .LBB0_4
; %bb.3:                                ;   in Loop: Header=BB0_2 Depth=1
	v_cvt_f32_u32_e32 v4, s24
	v_cvt_f32_u32_e32 v5, s25
	s_sub_u32 s0, 0, s24
	s_subb_u32 s1, 0, s25
	v_mac_f32_e32 v4, 0x4f800000, v5
	v_rcp_f32_e32 v4, v4
	v_mul_f32_e32 v4, 0x5f7ffffc, v4
	v_mul_f32_e32 v5, 0x2f800000, v4
	v_trunc_f32_e32 v5, v5
	v_mac_f32_e32 v4, 0xcf800000, v5
	v_cvt_u32_f32_e32 v5, v5
	v_cvt_u32_f32_e32 v4, v4
	v_mul_lo_u32 v7, s0, v5
	v_mul_hi_u32 v12, s0, v4
	v_mul_lo_u32 v14, s1, v4
	v_mul_lo_u32 v13, s0, v4
	v_add_u32_e32 v7, v12, v7
	v_add_u32_e32 v7, v7, v14
	v_mul_hi_u32 v12, v4, v13
	v_mul_lo_u32 v14, v4, v7
	v_mul_hi_u32 v16, v4, v7
	v_mul_hi_u32 v15, v5, v13
	v_mul_lo_u32 v13, v5, v13
	v_mul_hi_u32 v17, v5, v7
	v_add_co_u32_e32 v12, vcc, v12, v14
	v_addc_co_u32_e32 v14, vcc, 0, v16, vcc
	v_mul_lo_u32 v7, v5, v7
	v_add_co_u32_e32 v12, vcc, v12, v13
	v_addc_co_u32_e32 v12, vcc, v14, v15, vcc
	v_addc_co_u32_e32 v13, vcc, 0, v17, vcc
	v_add_co_u32_e32 v7, vcc, v12, v7
	v_addc_co_u32_e32 v12, vcc, 0, v13, vcc
	v_add_co_u32_e32 v4, vcc, v4, v7
	v_addc_co_u32_e32 v5, vcc, v5, v12, vcc
	v_mul_lo_u32 v7, s0, v5
	v_mul_hi_u32 v12, s0, v4
	v_mul_lo_u32 v13, s1, v4
	v_mul_lo_u32 v14, s0, v4
	v_add_u32_e32 v7, v12, v7
	v_add_u32_e32 v7, v7, v13
	v_mul_lo_u32 v15, v4, v7
	v_mul_hi_u32 v16, v4, v14
	v_mul_hi_u32 v17, v4, v7
	;; [unrolled: 1-line block ×3, first 2 shown]
	v_mul_lo_u32 v14, v5, v14
	v_mul_hi_u32 v12, v5, v7
	v_add_co_u32_e32 v15, vcc, v16, v15
	v_addc_co_u32_e32 v16, vcc, 0, v17, vcc
	v_mul_lo_u32 v7, v5, v7
	v_add_co_u32_e32 v14, vcc, v15, v14
	v_addc_co_u32_e32 v13, vcc, v16, v13, vcc
	v_addc_co_u32_e32 v12, vcc, 0, v12, vcc
	v_add_co_u32_e32 v7, vcc, v13, v7
	v_addc_co_u32_e32 v12, vcc, 0, v12, vcc
	v_add_co_u32_e32 v7, vcc, v4, v7
	v_addc_co_u32_e32 v12, vcc, v5, v12, vcc
	v_mad_u64_u32 v[4:5], s[0:1], v10, v12, 0
	v_mul_hi_u32 v13, v10, v7
	v_add_co_u32_e32 v14, vcc, v13, v4
	v_addc_co_u32_e32 v15, vcc, 0, v5, vcc
	v_mad_u64_u32 v[4:5], s[0:1], v11, v7, 0
	v_mad_u64_u32 v[12:13], s[0:1], v11, v12, 0
	v_add_co_u32_e32 v4, vcc, v14, v4
	v_addc_co_u32_e32 v4, vcc, v15, v5, vcc
	v_addc_co_u32_e32 v5, vcc, 0, v13, vcc
	v_add_co_u32_e32 v7, vcc, v4, v12
	v_addc_co_u32_e32 v12, vcc, 0, v5, vcc
	v_mul_lo_u32 v13, s25, v7
	v_mul_lo_u32 v14, s24, v12
	v_mad_u64_u32 v[4:5], s[0:1], s24, v7, 0
	v_add3_u32 v5, v5, v14, v13
	v_sub_u32_e32 v13, v11, v5
	v_mov_b32_e32 v14, s25
	v_sub_co_u32_e32 v4, vcc, v10, v4
	v_subb_co_u32_e64 v13, s[0:1], v13, v14, vcc
	v_subrev_co_u32_e64 v14, s[0:1], s24, v4
	v_subbrev_co_u32_e64 v13, s[0:1], 0, v13, s[0:1]
	v_cmp_le_u32_e64 s[0:1], s25, v13
	v_cndmask_b32_e64 v15, 0, -1, s[0:1]
	v_cmp_le_u32_e64 s[0:1], s24, v14
	v_cndmask_b32_e64 v14, 0, -1, s[0:1]
	v_cmp_eq_u32_e64 s[0:1], s25, v13
	v_cndmask_b32_e64 v13, v15, v14, s[0:1]
	v_add_co_u32_e64 v14, s[0:1], 2, v7
	v_addc_co_u32_e64 v15, s[0:1], 0, v12, s[0:1]
	v_add_co_u32_e64 v16, s[0:1], 1, v7
	v_addc_co_u32_e64 v17, s[0:1], 0, v12, s[0:1]
	v_subb_co_u32_e32 v5, vcc, v11, v5, vcc
	v_cmp_ne_u32_e64 s[0:1], 0, v13
	v_cmp_le_u32_e32 vcc, s25, v5
	v_cndmask_b32_e64 v13, v17, v15, s[0:1]
	v_cndmask_b32_e64 v15, 0, -1, vcc
	v_cmp_le_u32_e32 vcc, s24, v4
	v_cndmask_b32_e64 v4, 0, -1, vcc
	v_cmp_eq_u32_e32 vcc, s25, v5
	v_cndmask_b32_e32 v4, v15, v4, vcc
	v_cmp_ne_u32_e32 vcc, 0, v4
	v_cndmask_b32_e64 v4, v16, v14, s[0:1]
	v_cndmask_b32_e32 v5, v12, v13, vcc
	v_cndmask_b32_e32 v4, v7, v4, vcc
.LBB0_4:                                ;   in Loop: Header=BB0_2 Depth=1
	s_andn2_saveexec_b64 s[0:1], s[26:27]
	s_cbranch_execz .LBB0_6
; %bb.5:                                ;   in Loop: Header=BB0_2 Depth=1
	v_cvt_f32_u32_e32 v4, s24
	s_sub_i32 s26, 0, s24
	v_rcp_iflag_f32_e32 v4, v4
	v_mul_f32_e32 v4, 0x4f7ffffe, v4
	v_cvt_u32_f32_e32 v4, v4
	v_mul_lo_u32 v5, s26, v4
	v_mul_hi_u32 v5, v4, v5
	v_add_u32_e32 v4, v4, v5
	v_mul_hi_u32 v4, v10, v4
	v_mul_lo_u32 v5, v4, s24
	v_add_u32_e32 v7, 1, v4
	v_sub_u32_e32 v5, v10, v5
	v_subrev_u32_e32 v12, s24, v5
	v_cmp_le_u32_e32 vcc, s24, v5
	v_cndmask_b32_e32 v5, v5, v12, vcc
	v_cndmask_b32_e32 v4, v4, v7, vcc
	v_add_u32_e32 v7, 1, v4
	v_cmp_le_u32_e32 vcc, s24, v5
	v_cndmask_b32_e32 v4, v4, v7, vcc
	v_mov_b32_e32 v5, v3
.LBB0_6:                                ;   in Loop: Header=BB0_2 Depth=1
	s_or_b64 exec, exec, s[0:1]
	v_mul_lo_u32 v7, v5, s24
	v_mul_lo_u32 v14, v4, s25
	v_mad_u64_u32 v[12:13], s[0:1], v4, s24, 0
	s_load_dwordx2 s[0:1], s[6:7], 0x0
	s_load_dwordx2 s[24:25], s[2:3], 0x0
	v_add3_u32 v7, v13, v14, v7
	v_sub_co_u32_e32 v10, vcc, v10, v12
	v_subb_co_u32_e32 v7, vcc, v11, v7, vcc
	s_waitcnt lgkmcnt(0)
	v_mul_lo_u32 v11, s0, v7
	v_mul_lo_u32 v12, s1, v10
	v_mad_u64_u32 v[8:9], s[0:1], s0, v10, v[8:9]
	s_add_u32 s22, s22, 1
	s_addc_u32 s23, s23, 0
	s_add_u32 s2, s2, 8
	v_mul_lo_u32 v7, s24, v7
	v_mul_lo_u32 v13, s25, v10
	v_mad_u64_u32 v[1:2], s[0:1], s24, v10, v[1:2]
	v_add3_u32 v9, v12, v9, v11
	s_addc_u32 s3, s3, 0
	v_mov_b32_e32 v10, s14
	s_add_u32 s6, s6, 8
	v_mov_b32_e32 v11, s15
	s_addc_u32 s7, s7, 0
	v_cmp_ge_u64_e32 vcc, s[22:23], v[10:11]
	s_add_u32 s20, s20, 8
	v_add3_u32 v2, v13, v2, v7
	s_addc_u32 s21, s21, 0
	s_cbranch_vccnz .LBB0_8
; %bb.7:                                ;   in Loop: Header=BB0_2 Depth=1
	v_mov_b32_e32 v11, v5
	v_mov_b32_e32 v10, v4
	s_branch .LBB0_2
.LBB0_8:
	s_load_dwordx2 s[0:1], s[4:5], 0x28
	s_lshl_b64 s[6:7], s[14:15], 3
	s_add_u32 s2, s18, s6
	s_addc_u32 s3, s19, s7
                                        ; implicit-def: $sgpr14
                                        ; implicit-def: $vgpr3
	s_waitcnt lgkmcnt(0)
	v_cmp_gt_u64_e32 vcc, s[0:1], v[4:5]
	v_cmp_le_u64_e64 s[0:1], s[0:1], v[4:5]
	s_and_saveexec_b64 s[4:5], s[0:1]
	s_xor_b64 s[0:1], exec, s[4:5]
; %bb.9:
	s_mov_b32 s4, 0x7c1f07d
	v_mul_hi_u32 v3, v0, s4
	s_mov_b32 s14, 0
                                        ; implicit-def: $vgpr8_vgpr9
	v_mul_u32_u24_e32 v3, 33, v3
	v_sub_u32_e32 v3, v0, v3
                                        ; implicit-def: $vgpr0
; %bb.10:
	s_or_saveexec_b64 s[4:5], s[0:1]
	v_mov_b32_e32 v15, s14
	v_mov_b32_e32 v19, s14
	;; [unrolled: 1-line block ×4, first 2 shown]
                                        ; implicit-def: $vgpr11
                                        ; implicit-def: $vgpr10
                                        ; implicit-def: $vgpr12
                                        ; implicit-def: $vgpr7
                                        ; implicit-def: $vgpr17
                                        ; implicit-def: $vgpr14
                                        ; implicit-def: $vgpr21
                                        ; implicit-def: $vgpr16
                                        ; implicit-def: $vgpr22
                                        ; implicit-def: $vgpr18
	s_xor_b64 exec, exec, s[4:5]
	s_cbranch_execz .LBB0_12
; %bb.11:
	s_add_u32 s0, s16, s6
	s_addc_u32 s1, s17, s7
	s_load_dwordx2 s[0:1], s[0:1], 0x0
	s_mov_b32 s6, 0x7c1f07d
	v_mul_hi_u32 v3, v0, s6
	s_waitcnt lgkmcnt(0)
	v_mul_lo_u32 v7, s1, v4
	v_mul_lo_u32 v12, s0, v5
	v_mad_u64_u32 v[10:11], s[0:1], s0, v4, 0
	v_mul_u32_u24_e32 v3, 33, v3
	v_sub_u32_e32 v3, v0, v3
	v_add3_u32 v11, v11, v12, v7
	v_lshlrev_b64 v[10:11], 2, v[10:11]
	v_mov_b32_e32 v0, s9
	v_add_co_u32_e64 v10, s[0:1], s8, v10
	v_lshlrev_b64 v[7:8], 2, v[8:9]
	v_addc_co_u32_e64 v0, s[0:1], v0, v11, s[0:1]
	v_add_co_u32_e64 v7, s[0:1], v10, v7
	v_addc_co_u32_e64 v0, s[0:1], v0, v8, s[0:1]
	v_lshlrev_b32_e32 v8, 2, v3
	v_add_co_u32_e64 v8, s[0:1], v7, v8
	v_addc_co_u32_e64 v9, s[0:1], 0, v0, s[0:1]
	global_load_dword v7, v[8:9], off offset:660
	global_load_dword v14, v[8:9], off offset:792
	;; [unrolled: 1-line block ×3, first 2 shown]
	global_load_dword v10, v[8:9], off
	global_load_dword v18, v[8:9], off offset:1056
	global_load_dword v15, v[8:9], off offset:132
	global_load_dword v19, v[8:9], off offset:264
	global_load_dword v20, v[8:9], off offset:396
	global_load_dword v13, v[8:9], off offset:528
	s_waitcnt vmcnt(8)
	v_lshrrev_b32_e32 v12, 16, v7
	s_waitcnt vmcnt(7)
	v_lshrrev_b32_e32 v17, 16, v14
	;; [unrolled: 2-line block ×5, first 2 shown]
.LBB0_12:
	s_or_b64 exec, exec, s[4:5]
	s_mov_b32 s0, 0x24924925
	v_mul_hi_u32 v0, v6, s0
	s_waitcnt vmcnt(3)
	v_add_f16_e32 v8, v18, v15
	s_waitcnt vmcnt(2)
	v_add_f16_e32 v9, v16, v19
	s_waitcnt vmcnt(1)
	v_add_f16_e32 v26, v14, v20
	v_sub_u32_e32 v23, v6, v0
	v_lshrrev_b32_e32 v23, 1, v23
	v_add_u32_e32 v0, v23, v0
	v_lshrrev_b32_e32 v0, 2, v0
	v_mul_lo_u32 v0, v0, 7
	s_waitcnt vmcnt(0)
	v_add_f16_e32 v27, v7, v13
	v_add_f16_e32 v28, v8, v9
	;; [unrolled: 1-line block ×3, first 2 shown]
	v_sub_u32_e32 v0, v6, v0
	v_add_f16_e32 v6, v28, v27
	s_movk_i32 s4, 0x3a21
	v_sub_f16_sdwa v30, v13, v12 dst_sel:DWORD dst_unused:UNUSED_PAD src0_sel:WORD_1 src1_sel:DWORD
	v_fma_f16 v6, v6, -0.5, v23
	s_movk_i32 s0, 0x3be1
	s_movk_i32 s5, 0x318f
	v_sub_f16_sdwa v29, v15, v22 dst_sel:DWORD dst_unused:UNUSED_PAD src0_sel:WORD_1 src1_sel:DWORD
	v_mul_f16_e32 v23, 0xb924, v30
	v_fma_f16 v24, v27, s4, v10
	v_fma_f16 v23, v29, s0, v23
	s_mov_b32 s7, 0xbaee
	v_sub_f16_sdwa v31, v20, v17 dst_sel:DWORD dst_unused:UNUSED_PAD src0_sel:WORD_1 src1_sel:DWORD
	v_fma_f16 v24, v8, s5, v24
	s_movk_i32 s1, 0x3579
	s_mov_b32 s8, 0xbb84
	v_fma_f16 v23, v31, s7, v23
	v_sub_f16_sdwa v32, v19, v21 dst_sel:DWORD dst_unused:UNUSED_PAD src0_sel:WORD_1 src1_sel:DWORD
	v_fma_f16 v24, v26, -0.5, v24
	v_fma_f16 v23, v32, s1, v23
	v_fma_f16 v24, v9, s8, v24
	v_add_f16_e32 v24, v23, v24
	v_fma_f16 v25, v23, -2.0, v24
	v_add_f16_e32 v23, v29, v30
	s_movk_i32 s6, 0x3aee
	v_sub_f16_e32 v23, v23, v32
	v_fma_f16 v6, v23, s6, v6
	v_mul_f16_e32 v23, 0x3aee, v23
	v_fma_f16 v33, v23, -2.0, v6
	v_pack_b32_f16 v23, v24, v6
	s_mov_b32 s9, 0xb924
	v_mul_f16_e32 v6, 0x3be1, v30
	v_fma_f16 v24, v9, s4, v10
	v_fma_f16 v6, v32, s9, -v6
	v_fma_f16 v24, v27, s5, v24
	v_fma_f16 v6, v31, s6, v6
	v_fma_f16 v24, v26, -0.5, v24
	v_fma_f16 v6, v29, s1, v6
	v_fma_f16 v24, v8, s8, v24
	v_add_f16_e32 v24, v24, v6
	v_fma_f16 v6, v6, -2.0, v24
	v_pack_b32_f16 v24, v24, v6
	v_add_f16_sdwa v6, v22, v15 dst_sel:DWORD dst_unused:UNUSED_PAD src0_sel:DWORD src1_sel:WORD_1
	v_sub_f16_e32 v15, v15, v18
	v_add_f16_sdwa v18, v21, v19 dst_sel:DWORD dst_unused:UNUSED_PAD src0_sel:DWORD src1_sel:WORD_1
	v_fma_f16 v8, v8, s4, v10
	v_add_f16_sdwa v17, v17, v20 dst_sel:DWORD dst_unused:UNUSED_PAD src0_sel:DWORD src1_sel:WORD_1
	v_fma_f16 v8, v9, s5, v8
	v_add_f16_sdwa v9, v12, v13 dst_sel:DWORD dst_unused:UNUSED_PAD src0_sel:DWORD src1_sel:WORD_1
	v_add_f16_e32 v21, v6, v18
	v_sub_f16_e32 v16, v19, v16
	v_sub_f16_e32 v14, v20, v14
	v_fma_f16 v8, v26, -0.5, v8
	v_add_f16_e32 v20, v11, v17
	v_add_f16_e32 v22, v21, v9
	v_mul_f16_e32 v19, 0x3be1, v32
	s_movk_i32 s14, 0x3924
	v_fma_f16 v8, v27, s8, v8
	v_fma_f16 v20, v22, -0.5, v20
	v_mul_f16_e32 v22, 0x3be1, v16
	v_sub_f16_e32 v27, v13, v7
	v_fma_f16 v19, v29, s14, v19
	v_fma_f16 v22, v15, s14, v22
	v_mul_f16_e32 v29, 0xb924, v27
	v_fma_f16 v19, v31, s6, v19
	v_fma_f16 v22, v14, s6, v22
	;; [unrolled: 1-line block ×6, first 2 shown]
	v_add_f16_e32 v30, v15, v27
	v_mul_f16_e32 v27, 0x3be1, v27
	v_fma_f16 v29, v16, s1, v29
	v_sub_f16_e32 v30, v30, v16
	v_fma_f16 v16, v16, s9, -v27
	v_fma_f16 v14, v14, s6, v16
	v_fma_f16 v14, v15, s1, v14
	v_add_f16_e32 v15, v28, v26
	v_add_f16_e32 v15, v15, v13
	;; [unrolled: 1-line block ×4, first 2 shown]
	v_add_f16_sdwa v13, v16, v13 dst_sel:DWORD dst_unused:UNUSED_PAD src0_sel:DWORD src1_sel:WORD_1
	v_add_f16_e32 v7, v10, v7
	v_fma_f16 v10, v6, s4, v11
	v_add_f16_e32 v12, v12, v13
	v_fma_f16 v10, v18, s5, v10
	v_fma_f16 v13, v9, s4, v11
	v_add_f16_e32 v12, v11, v12
	v_fma_f16 v11, v18, s4, v11
	v_fma_f16 v10, v17, -0.5, v10
	v_fma_f16 v13, v6, s5, v13
	v_fma_f16 v10, v9, s8, v10
	;; [unrolled: 1-line block ×3, first 2 shown]
	v_fma_f16 v13, v17, -0.5, v13
	v_fma_f16 v9, v17, -0.5, v9
	v_mul_u32_u24_e32 v0, 0x129, v0
	v_fma_f16 v13, v18, s8, v13
	v_add_f16_e32 v8, v8, v19
	v_fma_f16 v6, v6, s8, v9
	v_lshlrev_b32_e32 v0, 1, v0
	v_sub_f16_e32 v15, v10, v22
	v_fma_f16 v10, v19, -2.0, v8
	v_sub_f16_e32 v11, v13, v29
	v_fma_f16 v17, v30, s7, v20
	v_mul_f16_e32 v18, 0x3aee, v30
	v_sub_f16_e32 v19, v6, v14
	v_add_u32_e32 v6, 0, v0
	v_pack_b32_f16 v25, v33, v25
	v_fma_f16 v16, v22, 2.0, v15
	v_fma_f16 v13, v29, 2.0, v11
	;; [unrolled: 1-line block ×4, first 2 shown]
	v_pack_b32_f16 v22, v7, v8
	v_mad_u32_u24 v20, v3, 18, v6
	v_lshl_add_u32 v7, v3, 1, v6
	v_lshlrev_b32_e32 v6, 4, v3
	s_load_dwordx2 s[4:5], s[2:3], 0x0
	ds_write_b128 v20, v[22:25]
	ds_write_b16 v20, v10 offset:16
	v_sub_u32_e32 v6, v20, v6
	v_pack_b32_f16 v9, v11, v17
	v_pack_b32_f16 v11, v18, v13
	;; [unrolled: 1-line block ×4, first 2 shown]
	v_mov_b32_e32 v12, 57
	s_waitcnt lgkmcnt(0)
	s_barrier
	ds_read_u16 v35, v7
	ds_read_u16 v36, v6 offset:66
	ds_read_u16 v14, v6 offset:462
	;; [unrolled: 1-line block ×8, first 2 shown]
	s_waitcnt lgkmcnt(0)
	s_barrier
	ds_write_b128 v20, v[8:11]
	ds_write_b16 v20, v16 offset:16
	v_mul_lo_u16_sdwa v8, v3, v12 dst_sel:DWORD dst_unused:UNUSED_PAD src0_sel:BYTE_0 src1_sel:DWORD
	v_lshrrev_b16_e32 v16, 9, v8
	v_mul_lo_u16_e32 v8, 9, v16
	v_sub_u16_e32 v32, v3, v8
	v_mov_b32_e32 v13, 3
	v_add_u16_e32 v10, 33, v3
	v_lshlrev_b32_sdwa v8, v13, v32 dst_sel:DWORD dst_unused:UNUSED_PAD src0_sel:DWORD src1_sel:BYTE_0
	v_mul_lo_u16_sdwa v11, v10, v12 dst_sel:DWORD dst_unused:UNUSED_PAD src0_sel:BYTE_0 src1_sel:DWORD
	s_waitcnt lgkmcnt(0)
	s_barrier
	global_load_dwordx2 v[8:9], v8, s[12:13]
	v_lshrrev_b16_e32 v33, 9, v11
	v_mul_lo_u16_e32 v11, 9, v33
	v_sub_u16_e32 v34, v10, v11
	v_lshlrev_b32_sdwa v10, v13, v34 dst_sel:DWORD dst_unused:UNUSED_PAD src0_sel:DWORD src1_sel:BYTE_0
	global_load_dwordx2 v[10:11], v10, s[12:13]
	v_add_u16_e32 v19, 0x42, v3
	v_mul_lo_u16_sdwa v12, v19, v12 dst_sel:DWORD dst_unused:UNUSED_PAD src0_sel:BYTE_0 src1_sel:DWORD
	v_lshrrev_b16_e32 v38, 9, v12
	v_mul_lo_u16_e32 v12, 9, v38
	v_sub_u16_e32 v39, v19, v12
	v_lshlrev_b32_sdwa v12, v13, v39 dst_sel:DWORD dst_unused:UNUSED_PAD src0_sel:DWORD src1_sel:BYTE_0
	global_load_dwordx2 v[12:13], v12, s[12:13]
	ds_read_u16 v20, v6 offset:198
	ds_read_u16 v23, v6 offset:264
	;; [unrolled: 1-line block ×6, first 2 shown]
	v_cmp_gt_u32_e64 s[0:1], 27, v3
	s_waitcnt vmcnt(2) lgkmcnt(5)
	v_mul_f16_sdwa v19, v20, v8 dst_sel:DWORD dst_unused:UNUSED_PAD src0_sel:DWORD src1_sel:WORD_1
	v_fma_f16 v19, v21, v8, -v19
	v_mul_f16_sdwa v21, v21, v8 dst_sel:DWORD dst_unused:UNUSED_PAD src0_sel:DWORD src1_sel:WORD_1
	v_fma_f16 v20, v20, v8, v21
	s_waitcnt lgkmcnt(1)
	v_mul_f16_sdwa v8, v22, v9 dst_sel:DWORD dst_unused:UNUSED_PAD src0_sel:DWORD src1_sel:WORD_1
	v_fma_f16 v21, v17, v9, -v8
	v_mul_f16_sdwa v8, v17, v9 dst_sel:DWORD dst_unused:UNUSED_PAD src0_sel:DWORD src1_sel:WORD_1
	v_fma_f16 v27, v22, v9, v8
	s_waitcnt vmcnt(1)
	v_mul_f16_sdwa v8, v23, v10 dst_sel:DWORD dst_unused:UNUSED_PAD src0_sel:DWORD src1_sel:WORD_1
	v_fma_f16 v22, v15, v10, -v8
	v_mul_f16_sdwa v8, v15, v10 dst_sel:DWORD dst_unused:UNUSED_PAD src0_sel:DWORD src1_sel:WORD_1
	v_fma_f16 v23, v23, v10, v8
	v_mul_f16_sdwa v8, v26, v11 dst_sel:DWORD dst_unused:UNUSED_PAD src0_sel:DWORD src1_sel:WORD_1
	v_fma_f16 v24, v14, v11, -v8
	v_mul_f16_sdwa v8, v14, v11 dst_sel:DWORD dst_unused:UNUSED_PAD src0_sel:DWORD src1_sel:WORD_1
	v_fma_f16 v28, v26, v11, v8
	ds_read_u16 v8, v6 offset:528
	s_waitcnt vmcnt(0)
	v_mul_f16_sdwa v9, v29, v12 dst_sel:DWORD dst_unused:UNUSED_PAD src0_sel:DWORD src1_sel:WORD_1
	v_fma_f16 v26, v18, v12, -v9
	v_mul_f16_sdwa v9, v18, v12 dst_sel:DWORD dst_unused:UNUSED_PAD src0_sel:DWORD src1_sel:WORD_1
	v_fma_f16 v29, v29, v12, v9
	s_waitcnt lgkmcnt(0)
	v_mul_f16_sdwa v9, v8, v13 dst_sel:DWORD dst_unused:UNUSED_PAD src0_sel:DWORD src1_sel:WORD_1
	v_fma_f16 v30, v31, v13, -v9
	v_mul_f16_sdwa v9, v31, v13 dst_sel:DWORD dst_unused:UNUSED_PAD src0_sel:DWORD src1_sel:WORD_1
	v_fma_f16 v31, v8, v13, v9
	v_mov_b32_e32 v8, 1
	v_lshlrev_b32_sdwa v9, v8, v32 dst_sel:DWORD dst_unused:UNUSED_PAD src0_sel:DWORD src1_sel:BYTE_0
	v_mad_u32_u24 v11, v16, 54, 0
	v_lshlrev_b32_sdwa v10, v8, v34 dst_sel:DWORD dst_unused:UNUSED_PAD src0_sel:DWORD src1_sel:BYTE_0
	v_add3_u32 v32, v11, v9, v0
	v_mad_u32_u24 v9, v33, 54, 0
	v_lshlrev_b32_sdwa v8, v8, v39 dst_sel:DWORD dst_unused:UNUSED_PAD src0_sel:DWORD src1_sel:BYTE_0
	v_add3_u32 v33, v9, v10, v0
	v_mad_u32_u24 v9, v38, 54, 0
	v_add3_u32 v34, v9, v8, v0
	v_add_f16_e32 v0, v19, v21
	v_fma_f16 v0, v0, -0.5, v35
	v_sub_f16_e32 v8, v20, v27
	v_fma_f16 v9, v8, s6, v0
	v_fma_f16 v10, v8, s7, v0
	v_add_f16_e32 v0, v22, v24
	v_fma_f16 v0, v0, -0.5, v36
	v_sub_f16_e32 v8, v23, v28
	v_fma_f16 v12, v8, s6, v0
	v_fma_f16 v11, v8, s7, v0
	;; [unrolled: 5-line block ×3, first 2 shown]
	v_add_f16_e32 v0, v35, v19
	v_add_f16_e32 v8, v36, v22
	ds_read_u16 v36, v7
	ds_read_u16 v35, v6 offset:66
	v_add_f16_e32 v15, v8, v24
	v_add_f16_e32 v8, v37, v26
	;; [unrolled: 1-line block ×4, first 2 shown]
	s_waitcnt lgkmcnt(0)
	s_barrier
	ds_write_b16 v32, v0
	ds_write_b16 v32, v9 offset:18
	ds_write_b16 v32, v10 offset:36
	ds_write_b16 v33, v15
	ds_write_b16 v33, v12 offset:18
	ds_write_b16 v33, v11 offset:36
	;; [unrolled: 3-line block ×3, first 2 shown]
	s_waitcnt lgkmcnt(0)
	s_barrier
	s_waitcnt lgkmcnt(0)
                                        ; implicit-def: $vgpr18
                                        ; implicit-def: $vgpr17
	s_and_saveexec_b64 s[2:3], s[0:1]
	s_cbranch_execz .LBB0_14
; %bb.13:
	ds_read_u16 v0, v7
	ds_read_u16 v9, v6 offset:54
	ds_read_u16 v10, v6 offset:108
	ds_read_u16 v15, v6 offset:162
	ds_read_u16 v12, v6 offset:216
	ds_read_u16 v11, v6 offset:270
	ds_read_u16 v16, v6 offset:324
	ds_read_u16 v13, v6 offset:378
	ds_read_u16 v14, v6 offset:432
	ds_read_u16 v17, v6 offset:486
	ds_read_u16 v18, v6 offset:540
.LBB0_14:
	s_or_b64 exec, exec, s[2:3]
	v_add_f16_e32 v8, v36, v20
	v_add_f16_e32 v20, v20, v27
	v_fma_f16 v20, v20, -0.5, v36
	v_sub_f16_e32 v21, v19, v21
	v_fma_f16 v19, v21, s7, v20
	v_fma_f16 v20, v21, s6, v20
	v_add_f16_e32 v21, v35, v23
	v_add_f16_e32 v23, v23, v28
	;; [unrolled: 1-line block ×3, first 2 shown]
	v_fma_f16 v27, v23, -0.5, v35
	v_sub_f16_e32 v22, v22, v24
	v_fma_f16 v23, v22, s7, v27
	v_fma_f16 v22, v22, s6, v27
	v_add_f16_e32 v27, v29, v31
	v_add_f16_e32 v24, v25, v29
	v_fma_f16 v27, v27, -0.5, v25
	v_sub_f16_e32 v26, v26, v30
	v_add_f16_e32 v21, v21, v28
	v_add_f16_e32 v24, v24, v31
	v_fma_f16 v25, v26, s7, v27
	v_fma_f16 v26, v26, s6, v27
	s_waitcnt lgkmcnt(0)
	s_barrier
	ds_write_b16 v32, v8
	ds_write_b16 v32, v19 offset:18
	ds_write_b16 v32, v20 offset:36
	ds_write_b16 v33, v21
	ds_write_b16 v33, v23 offset:18
	ds_write_b16 v33, v22 offset:36
	;; [unrolled: 3-line block ×3, first 2 shown]
	s_waitcnt lgkmcnt(0)
	s_barrier
	s_waitcnt lgkmcnt(0)
                                        ; implicit-def: $vgpr28
                                        ; implicit-def: $vgpr27
	s_and_saveexec_b64 s[2:3], s[0:1]
	s_cbranch_execz .LBB0_16
; %bb.15:
	ds_read_u16 v8, v7
	ds_read_u16 v19, v6 offset:54
	ds_read_u16 v20, v6 offset:108
	;; [unrolled: 1-line block ×10, first 2 shown]
.LBB0_16:
	s_or_b64 exec, exec, s[2:3]
	v_cmp_gt_u32_e64 s[2:3], 27, v3
	s_and_b64 s[2:3], vcc, s[2:3]
	s_and_saveexec_b64 s[6:7], s[2:3]
	s_cbranch_execz .LBB0_18
; %bb.17:
	v_subrev_u32_e32 v6, 27, v3
	v_cndmask_b32_e64 v6, v6, v3, s[0:1]
	v_mul_i32_i24_e32 v6, 10, v6
	v_mov_b32_e32 v7, 0
	v_lshlrev_b64 v[29:30], 2, v[6:7]
	v_mov_b32_e32 v6, s13
	v_add_co_u32_e32 v37, vcc, s12, v29
	v_addc_co_u32_e32 v38, vcc, v6, v30, vcc
	global_load_dwordx4 v[29:32], v[37:38], off offset:72
	global_load_dwordx4 v[33:36], v[37:38], off offset:88
	global_load_dwordx2 v[39:40], v[37:38], off offset:104
	v_mul_lo_u32 v37, s5, v4
	v_mul_lo_u32 v38, s4, v5
	v_mad_u64_u32 v[5:6], s[0:1], s4, v4, 0
	s_movk_i32 s6, 0x3beb
	s_mov_b32 s5, 0xb482
	v_add3_u32 v6, v6, v38, v37
	s_mov_b32 s7, 0xbb47
	s_movk_i32 s8, 0x3853
	s_movk_i32 s9, 0x3a0c
	s_mov_b32 s1, 0xb08e
	s_mov_b32 s0, 0xbbad
	s_movk_i32 s2, 0x36a6
	s_movk_i32 s3, 0x3abb
	s_mov_b32 s4, 0xb93d
	s_mov_b32 s12, 0xbbeb
	s_movk_i32 s13, 0x3482
	s_mov_b32 s14, 0xb853
	v_lshlrev_b64 v[5:6], 2, v[5:6]
	v_add_co_u32_e32 v5, vcc, s10, v5
	s_waitcnt vmcnt(2)
	v_lshrrev_b32_e32 v4, 16, v29
	s_waitcnt lgkmcnt(9)
	v_mul_f16_e32 v37, v19, v29
	v_lshrrev_b32_e32 v38, 16, v30
	s_waitcnt lgkmcnt(8)
	v_mul_f16_e32 v41, v20, v30
	;; [unrolled: 3-line block ×4, first 2 shown]
	s_waitcnt vmcnt(0)
	v_lshrrev_b32_e32 v54, 16, v40
	s_waitcnt lgkmcnt(0)
	v_mul_f16_e32 v55, v28, v40
	v_lshrrev_b32_e32 v46, 16, v36
	v_mul_f16_e32 v47, v26, v36
	v_lshrrev_b32_e32 v48, 16, v35
	v_lshrrev_b32_e32 v52, 16, v34
	v_lshrrev_b32_e32 v56, 16, v39
	v_mul_f16_e32 v57, v27, v39
	v_mul_f16_e32 v19, v19, v4
	v_fma_f16 v4, v9, v4, v37
	v_fma_f16 v37, v10, v38, v41
	;; [unrolled: 1-line block ×5, first 2 shown]
	v_mul_f16_e32 v28, v28, v54
	v_mul_f16_e32 v49, v25, v35
	;; [unrolled: 1-line block ×7, first 2 shown]
	v_fma_f16 v38, v14, v46, v47
	v_fma_f16 v46, v17, v56, v57
	v_mul_f16_e32 v27, v27, v56
	v_fma_f16 v9, v9, v29, -v19
	v_add_f16_e32 v19, v45, v4
	v_fma_f16 v18, v18, v40, -v28
	v_lshrrev_b32_e32 v50, 16, v33
	v_mul_f16_e32 v21, v21, v42
	v_mul_f16_e32 v23, v23, v44
	v_fma_f16 v42, v13, v48, v49
	v_fma_f16 v44, v16, v52, v53
	v_fma_f16 v10, v10, v30, -v20
	v_fma_f16 v13, v13, v35, -v25
	;; [unrolled: 1-line block ×3, first 2 shown]
	v_add_f16_e32 v20, v46, v37
	v_fma_f16 v17, v17, v39, -v27
	v_mul_f16_e32 v24, 0xb08e, v19
	v_sub_f16_e32 v25, v9, v18
	v_mul_f16_e32 v51, v22, v33
	v_mul_f16_e32 v22, v22, v50
	v_fma_f16 v15, v15, v31, -v21
	v_fma_f16 v14, v14, v36, -v26
	v_add_f16_e32 v21, v38, v41
	v_mul_f16_e32 v26, 0xbbad, v20
	v_sub_f16_e32 v27, v10, v17
	v_fma_f16 v34, v25, s6, v24
	v_fma_f16 v47, v11, v50, v51
	v_fma_f16 v12, v12, v32, -v23
	v_fma_f16 v11, v11, v33, -v22
	v_add_f16_e32 v22, v42, v43
	v_mul_f16_e32 v28, 0x36a6, v21
	v_sub_f16_e32 v29, v15, v14
	v_fma_f16 v35, v27, s5, v26
	v_add_f16_e32 v34, v8, v34
	v_add_f16_e32 v23, v44, v47
	v_mul_f16_e32 v30, 0x3abb, v22
	v_sub_f16_e32 v31, v12, v13
	v_fma_f16 v36, v29, s7, v28
	v_add_f16_e32 v34, v34, v35
	v_mul_f16_e32 v32, 0xb93d, v23
	v_sub_f16_e32 v33, v11, v16
	v_fma_f16 v39, v31, s8, v30
	v_add_f16_e32 v34, v34, v36
	v_add_f16_e32 v34, v34, v39
	v_fma_f16 v35, v33, s9, v32
	v_sub_f16_e32 v36, v4, v45
	v_add_f16_e32 v34, v34, v35
	v_add_f16_e32 v35, v18, v9
	v_mul_f16_e32 v39, 0xbbeb, v36
	v_sub_f16_e32 v49, v37, v46
	v_fma_f16 v40, v35, s1, v39
	v_add_f16_e32 v48, v17, v10
	v_mul_f16_e32 v50, 0x3482, v49
	v_add_f16_e32 v40, v0, v40
	v_fma_f16 v51, v48, s0, v50
	v_sub_f16_e32 v52, v41, v38
	v_add_f16_e32 v40, v40, v51
	v_add_f16_e32 v51, v14, v15
	v_mul_f16_e32 v53, 0x3b47, v52
	v_fma_f16 v54, v51, s2, v53
	v_sub_f16_e32 v55, v43, v42
	v_add_f16_e32 v40, v40, v54
	v_add_f16_e32 v54, v13, v12
	v_mul_f16_e32 v56, 0xb853, v55
	;; [unrolled: 5-line block ×3, first 2 shown]
	v_fma_f16 v60, v57, s4, v59
	v_add_f16_e32 v40, v40, v60
	v_mul_f16_e32 v60, 0xb93d, v19
	v_fma_f16 v61, v25, s9, v60
	v_mul_f16_e32 v62, 0xb08e, v20
	v_add_f16_e32 v61, v8, v61
	v_fma_f16 v63, v27, s12, v62
	v_add_f16_e32 v61, v61, v63
	v_mul_f16_e32 v63, 0x3abb, v21
	v_fma_f16 v64, v29, s8, v63
	v_add_f16_e32 v61, v61, v64
	v_mul_f16_e32 v64, 0xbbad, v22
	;; [unrolled: 3-line block ×4, first 2 shown]
	v_fma_f16 v67, v35, s4, v66
	v_mul_f16_e32 v68, 0x3beb, v49
	v_add_f16_e32 v67, v0, v67
	v_fma_f16 v69, v48, s1, v68
	v_add_f16_e32 v67, v67, v69
	v_mul_f16_e32 v69, 0xb853, v52
	v_fma_f16 v70, v51, s3, v69
	v_add_f16_e32 v67, v67, v70
	v_mul_f16_e32 v70, 0xb482, v55
	;; [unrolled: 3-line block ×4, first 2 shown]
	v_fma_f16 v73, v25, s13, v72
	v_mul_f16_e32 v74, 0x3abb, v20
	v_add_f16_e32 v73, v8, v73
	v_fma_f16 v75, v27, s14, v74
	v_add_f16_e32 v73, v73, v75
	v_mul_f16_e32 v75, 0xb93d, v21
	v_fma_f16 v24, v25, s12, v24
	v_fma_f16 v76, v29, s9, v75
	;; [unrolled: 1-line block ×3, first 2 shown]
	s_movk_i32 s8, 0x3b47
	v_add_f16_e32 v24, v8, v24
	v_fma_f16 v26, v27, s13, v26
	v_add_f16_e32 v73, v73, v76
	v_mul_f16_e32 v76, 0x36a6, v22
	v_add_f16_e32 v24, v24, v26
	v_fma_f16 v26, v29, s8, v28
	v_fma_f16 v77, v31, s7, v76
	s_mov_b32 s7, 0xba0c
	v_add_f16_e32 v24, v24, v26
	v_fma_f16 v26, v31, s14, v30
	v_add_f16_e32 v24, v24, v26
	v_fma_f16 v26, v33, s7, v32
	v_add_f16_e32 v24, v24, v26
	v_fma_f16 v26, v35, s1, -v39
	v_add_f16_e32 v26, v0, v26
	v_fma_f16 v28, v48, s0, -v50
	;; [unrolled: 2-line block ×5, first 2 shown]
	v_add_f16_e32 v4, v8, v4
	v_fma_f16 v60, v25, s7, v60
	v_add_f16_e32 v26, v26, v28
	v_mul_f16_e32 v28, 0xbb47, v25
	v_add_f16_e32 v4, v4, v37
	v_add_f16_e32 v60, v8, v60
	v_fma_f16 v62, v27, s6, v62
	v_fma_f16 v30, v19, s2, v28
	v_mul_f16_e32 v32, 0xba0c, v27
	v_add_f16_e32 v4, v4, v41
	v_add_f16_e32 v60, v60, v62
	v_fma_f16 v62, v29, s14, v63
	v_add_f16_e32 v30, v8, v30
	v_fma_f16 v39, v20, s4, v32
	v_add_f16_e32 v4, v4, v43
	v_add_f16_e32 v60, v60, v62
	v_fma_f16 v62, v31, s5, v64
	v_add_f16_e32 v30, v30, v39
	v_mul_f16_e32 v39, 0x3482, v29
	v_add_f16_e32 v4, v4, v47
	v_add_f16_e32 v60, v60, v62
	v_fma_f16 v62, v33, s8, v65
	v_fma_f16 v50, v21, s0, v39
	v_add_f16_e32 v4, v44, v4
	v_add_f16_e32 v60, v60, v62
	v_fma_f16 v62, v35, s4, -v66
	v_add_f16_e32 v30, v30, v50
	v_mul_f16_e32 v50, 0x3beb, v31
	v_add_f16_e32 v9, v0, v9
	v_add_f16_e32 v4, v42, v4
	;; [unrolled: 1-line block ×3, first 2 shown]
	v_fma_f16 v63, v48, s1, -v68
	v_fma_f16 v53, v22, s1, v50
	v_add_f16_e32 v9, v9, v10
	v_add_f16_e32 v4, v38, v4
	;; [unrolled: 1-line block ×3, first 2 shown]
	v_fma_f16 v63, v51, s3, -v69
	v_add_f16_e32 v30, v30, v53
	v_mul_f16_e32 v53, 0x3853, v33
	v_add_f16_e32 v9, v9, v15
	v_add_f16_e32 v4, v46, v4
	;; [unrolled: 1-line block ×3, first 2 shown]
	v_fma_f16 v63, v54, s0, -v70
	v_fma_f16 v56, v23, s3, v53
	v_add_f16_e32 v9, v9, v12
	v_add_f16_e32 v10, v45, v4
	v_fma_f16 v4, v19, s2, -v28
	v_add_f16_e32 v62, v62, v63
	v_fma_f16 v63, v57, s2, -v71
	v_add_f16_e32 v30, v30, v56
	v_mul_f16_e32 v56, 0xbb47, v36
	v_add_f16_e32 v9, v9, v11
	v_add_f16_e32 v4, v8, v4
	v_fma_f16 v11, v20, s4, -v32
	v_add_f16_e32 v62, v62, v63
	v_fma_f16 v59, v35, s2, -v56
	v_mul_f16_e32 v63, 0xba0c, v49
	v_add_f16_e32 v4, v4, v11
	v_fma_f16 v11, v21, s0, -v39
	v_add_f16_e32 v59, v0, v59
	v_fma_f16 v64, v48, s4, -v63
	;; [unrolled: 2-line block ×3, first 2 shown]
	v_add_f16_e32 v59, v59, v64
	v_mul_f16_e32 v64, 0x3482, v52
	v_add_f16_e32 v4, v4, v11
	v_fma_f16 v11, v23, s3, -v53
	v_fma_f16 v65, v51, s0, -v64
	v_add_f16_e32 v11, v4, v11
	v_fma_f16 v4, v35, s2, v56
	v_add_f16_e32 v59, v59, v65
	v_mul_f16_e32 v65, 0x3beb, v55
	v_add_f16_e32 v4, v0, v4
	v_fma_f16 v12, v48, s4, v63
	v_fma_f16 v66, v54, s1, -v65
	v_add_f16_e32 v4, v4, v12
	v_fma_f16 v12, v51, s0, v64
	v_add_f16_e32 v59, v59, v66
	v_mul_f16_e32 v66, 0x3853, v58
	v_add_f16_e32 v4, v4, v12
	v_fma_f16 v12, v54, s1, v65
	v_add_f16_e32 v73, v73, v77
	v_mul_f16_e32 v77, 0xb08e, v23
	v_fma_f16 v72, v25, s5, v72
	v_fma_f16 v68, v57, s3, -v66
	v_mul_f16_e32 v25, 0xb853, v25
	v_add_f16_e32 v4, v4, v12
	v_fma_f16 v12, v57, s3, v66
	v_fma_f16 v78, v33, s6, v77
	v_add_f16_e32 v72, v8, v72
	v_add_f16_e32 v59, v59, v68
	v_fma_f16 v68, v19, s3, v25
	v_mul_f16_e32 v27, 0xbb47, v27
	v_add_f16_e32 v12, v4, v12
	v_fma_f16 v4, v19, s3, -v25
	v_add_f16_e32 v73, v73, v78
	v_mul_f16_e32 v78, 0xb482, v36
	v_add_f16_e32 v72, v72, v74
	v_fma_f16 v74, v29, s7, v75
	v_add_f16_e32 v68, v8, v68
	v_fma_f16 v69, v20, s2, v27
	v_mul_f16_e32 v29, 0xbbeb, v29
	v_add_f16_e32 v4, v8, v4
	v_fma_f16 v8, v20, s2, -v27
	v_fma_f16 v79, v35, s0, v78
	v_mul_f16_e32 v80, 0x3853, v49
	v_add_f16_e32 v72, v72, v74
	v_fma_f16 v74, v31, s8, v76
	v_add_f16_e32 v68, v68, v69
	v_fma_f16 v69, v21, s1, v29
	v_mul_f16_e32 v31, 0xba0c, v31
	v_add_f16_e32 v4, v4, v8
	v_fma_f16 v8, v21, s1, -v29
	v_add_f16_e32 v79, v0, v79
	v_fma_f16 v81, v48, s3, v80
	v_add_f16_e32 v72, v72, v74
	v_fma_f16 v74, v33, s12, v77
	;; [unrolled: 2-line block ×3, first 2 shown]
	v_mul_f16_e32 v33, 0xb482, v33
	v_add_f16_e32 v4, v4, v8
	v_fma_f16 v8, v22, s4, -v31
	v_add_f16_e32 v79, v79, v81
	v_mul_f16_e32 v81, 0xba0c, v52
	v_add_f16_e32 v68, v68, v69
	v_fma_f16 v69, v23, s0, v33
	v_mul_f16_e32 v36, 0xb853, v36
	v_add_f16_e32 v4, v4, v8
	v_fma_f16 v8, v23, s0, -v33
	v_fma_f16 v82, v51, s4, v81
	v_add_f16_e32 v72, v72, v74
	v_fma_f16 v74, v35, s0, -v78
	v_add_f16_e32 v68, v68, v69
	v_fma_f16 v69, v35, s3, -v36
	v_mul_f16_e32 v49, 0xbb47, v49
	v_add_f16_e32 v8, v4, v8
	v_fma_f16 v4, v35, s3, v36
	v_add_f16_e32 v79, v79, v82
	v_mul_f16_e32 v82, 0x3b47, v55
	v_add_f16_e32 v74, v0, v74
	v_add_f16_e32 v69, v0, v69
	v_mul_f16_e32 v52, 0xbbeb, v52
	v_add_f16_e32 v0, v0, v4
	v_fma_f16 v4, v48, s2, v49
	v_fma_f16 v83, v54, s2, v82
	v_mul_f16_e32 v55, 0xba0c, v55
	v_add_f16_e32 v0, v0, v4
	v_fma_f16 v4, v51, s1, v52
	v_add_f16_e32 v79, v79, v83
	v_mul_f16_e32 v83, 0xbbeb, v58
	v_mul_f16_e32 v58, 0xb482, v58
	v_add_f16_e32 v0, v0, v4
	v_fma_f16 v4, v54, s4, v55
	v_add_f16_e32 v9, v16, v9
	v_add_f16_e32 v0, v0, v4
	v_fma_f16 v4, v57, s0, v58
	v_add_f16_e32 v9, v13, v9
	v_add_f16_e32 v13, v0, v4
	v_mov_b32_e32 v0, s11
	v_addc_co_u32_e32 v6, vcc, v0, v6, vcc
	v_lshlrev_b64 v[0:1], 2, v[1:2]
	v_fma_f16 v70, v48, s2, -v49
	v_mov_b32_e32 v4, v7
	v_add_co_u32_e32 v2, vcc, v5, v0
	v_add_f16_e32 v69, v69, v70
	v_fma_f16 v70, v51, s1, -v52
	v_add_f16_e32 v9, v14, v9
	v_addc_co_u32_e32 v5, vcc, v6, v1, vcc
	v_lshlrev_b64 v[0:1], 2, v[3:4]
	v_add_f16_e32 v69, v69, v70
	v_fma_f16 v70, v54, s4, -v55
	v_add_f16_e32 v9, v17, v9
	v_add_f16_e32 v69, v69, v70
	v_fma_f16 v70, v57, s0, -v58
	v_add_f16_e32 v9, v18, v9
	v_add_co_u32_e32 v0, vcc, v2, v0
	v_fma_f16 v75, v48, s3, -v80
	v_add_f16_e32 v69, v69, v70
	v_addc_co_u32_e32 v1, vcc, v5, v1, vcc
	v_pack_b32_f16 v2, v9, v10
	v_add_f16_e32 v74, v74, v75
	v_fma_f16 v75, v51, s4, -v81
	global_store_dword v[0:1], v2, off
	v_pack_b32_f16 v2, v69, v68
	v_add_f16_e32 v74, v74, v75
	v_fma_f16 v75, v54, s2, -v82
	global_store_dword v[0:1], v2, off offset:108
	v_pack_b32_f16 v2, v59, v30
	v_add_f16_e32 v74, v74, v75
	v_fma_f16 v75, v57, s1, -v83
	global_store_dword v[0:1], v2, off offset:216
	v_pack_b32_f16 v2, v26, v24
	v_fma_f16 v84, v57, s1, v83
	v_add_f16_e32 v74, v74, v75
	global_store_dword v[0:1], v2, off offset:324
	v_pack_b32_f16 v2, v62, v60
	v_add_f16_e32 v79, v79, v84
	global_store_dword v[0:1], v2, off offset:432
	v_pack_b32_f16 v2, v74, v72
	global_store_dword v[0:1], v2, off offset:540
	v_pack_b32_f16 v2, v79, v73
	;; [unrolled: 2-line block ×6, first 2 shown]
	global_store_dword v[0:1], v2, off offset:1080
.LBB0_18:
	s_endpgm
	.section	.rodata,"a",@progbits
	.p2align	6, 0x0
	.amdhsa_kernel fft_rtc_fwd_len297_factors_9_3_11_wgs_231_tpt_33_halfLds_half_op_CI_CI_unitstride_sbrr_dirReg
		.amdhsa_group_segment_fixed_size 0
		.amdhsa_private_segment_fixed_size 0
		.amdhsa_kernarg_size 104
		.amdhsa_user_sgpr_count 6
		.amdhsa_user_sgpr_private_segment_buffer 1
		.amdhsa_user_sgpr_dispatch_ptr 0
		.amdhsa_user_sgpr_queue_ptr 0
		.amdhsa_user_sgpr_kernarg_segment_ptr 1
		.amdhsa_user_sgpr_dispatch_id 0
		.amdhsa_user_sgpr_flat_scratch_init 0
		.amdhsa_user_sgpr_private_segment_size 0
		.amdhsa_uses_dynamic_stack 0
		.amdhsa_system_sgpr_private_segment_wavefront_offset 0
		.amdhsa_system_sgpr_workgroup_id_x 1
		.amdhsa_system_sgpr_workgroup_id_y 0
		.amdhsa_system_sgpr_workgroup_id_z 0
		.amdhsa_system_sgpr_workgroup_info 0
		.amdhsa_system_vgpr_workitem_id 0
		.amdhsa_next_free_vgpr 85
		.amdhsa_next_free_sgpr 28
		.amdhsa_reserve_vcc 1
		.amdhsa_reserve_flat_scratch 0
		.amdhsa_float_round_mode_32 0
		.amdhsa_float_round_mode_16_64 0
		.amdhsa_float_denorm_mode_32 3
		.amdhsa_float_denorm_mode_16_64 3
		.amdhsa_dx10_clamp 1
		.amdhsa_ieee_mode 1
		.amdhsa_fp16_overflow 0
		.amdhsa_exception_fp_ieee_invalid_op 0
		.amdhsa_exception_fp_denorm_src 0
		.amdhsa_exception_fp_ieee_div_zero 0
		.amdhsa_exception_fp_ieee_overflow 0
		.amdhsa_exception_fp_ieee_underflow 0
		.amdhsa_exception_fp_ieee_inexact 0
		.amdhsa_exception_int_div_zero 0
	.end_amdhsa_kernel
	.text
.Lfunc_end0:
	.size	fft_rtc_fwd_len297_factors_9_3_11_wgs_231_tpt_33_halfLds_half_op_CI_CI_unitstride_sbrr_dirReg, .Lfunc_end0-fft_rtc_fwd_len297_factors_9_3_11_wgs_231_tpt_33_halfLds_half_op_CI_CI_unitstride_sbrr_dirReg
                                        ; -- End function
	.section	.AMDGPU.csdata,"",@progbits
; Kernel info:
; codeLenInByte = 6132
; NumSgprs: 32
; NumVgprs: 85
; ScratchSize: 0
; MemoryBound: 0
; FloatMode: 240
; IeeeMode: 1
; LDSByteSize: 0 bytes/workgroup (compile time only)
; SGPRBlocks: 3
; VGPRBlocks: 21
; NumSGPRsForWavesPerEU: 32
; NumVGPRsForWavesPerEU: 85
; Occupancy: 2
; WaveLimiterHint : 1
; COMPUTE_PGM_RSRC2:SCRATCH_EN: 0
; COMPUTE_PGM_RSRC2:USER_SGPR: 6
; COMPUTE_PGM_RSRC2:TRAP_HANDLER: 0
; COMPUTE_PGM_RSRC2:TGID_X_EN: 1
; COMPUTE_PGM_RSRC2:TGID_Y_EN: 0
; COMPUTE_PGM_RSRC2:TGID_Z_EN: 0
; COMPUTE_PGM_RSRC2:TIDIG_COMP_CNT: 0
	.type	__hip_cuid_f3094ce39905d091,@object ; @__hip_cuid_f3094ce39905d091
	.section	.bss,"aw",@nobits
	.globl	__hip_cuid_f3094ce39905d091
__hip_cuid_f3094ce39905d091:
	.byte	0                               ; 0x0
	.size	__hip_cuid_f3094ce39905d091, 1

	.ident	"AMD clang version 19.0.0git (https://github.com/RadeonOpenCompute/llvm-project roc-6.4.0 25133 c7fe45cf4b819c5991fe208aaa96edf142730f1d)"
	.section	".note.GNU-stack","",@progbits
	.addrsig
	.addrsig_sym __hip_cuid_f3094ce39905d091
	.amdgpu_metadata
---
amdhsa.kernels:
  - .args:
      - .actual_access:  read_only
        .address_space:  global
        .offset:         0
        .size:           8
        .value_kind:     global_buffer
      - .offset:         8
        .size:           8
        .value_kind:     by_value
      - .actual_access:  read_only
        .address_space:  global
        .offset:         16
        .size:           8
        .value_kind:     global_buffer
      - .actual_access:  read_only
        .address_space:  global
        .offset:         24
        .size:           8
        .value_kind:     global_buffer
      - .actual_access:  read_only
        .address_space:  global
        .offset:         32
        .size:           8
        .value_kind:     global_buffer
      - .offset:         40
        .size:           8
        .value_kind:     by_value
      - .actual_access:  read_only
        .address_space:  global
        .offset:         48
        .size:           8
        .value_kind:     global_buffer
      - .actual_access:  read_only
        .address_space:  global
        .offset:         56
        .size:           8
        .value_kind:     global_buffer
      - .offset:         64
        .size:           4
        .value_kind:     by_value
      - .actual_access:  read_only
        .address_space:  global
        .offset:         72
        .size:           8
        .value_kind:     global_buffer
      - .actual_access:  read_only
        .address_space:  global
        .offset:         80
        .size:           8
        .value_kind:     global_buffer
      - .actual_access:  read_only
        .address_space:  global
        .offset:         88
        .size:           8
        .value_kind:     global_buffer
      - .actual_access:  write_only
        .address_space:  global
        .offset:         96
        .size:           8
        .value_kind:     global_buffer
    .group_segment_fixed_size: 0
    .kernarg_segment_align: 8
    .kernarg_segment_size: 104
    .language:       OpenCL C
    .language_version:
      - 2
      - 0
    .max_flat_workgroup_size: 231
    .name:           fft_rtc_fwd_len297_factors_9_3_11_wgs_231_tpt_33_halfLds_half_op_CI_CI_unitstride_sbrr_dirReg
    .private_segment_fixed_size: 0
    .sgpr_count:     32
    .sgpr_spill_count: 0
    .symbol:         fft_rtc_fwd_len297_factors_9_3_11_wgs_231_tpt_33_halfLds_half_op_CI_CI_unitstride_sbrr_dirReg.kd
    .uniform_work_group_size: 1
    .uses_dynamic_stack: false
    .vgpr_count:     85
    .vgpr_spill_count: 0
    .wavefront_size: 64
amdhsa.target:   amdgcn-amd-amdhsa--gfx906
amdhsa.version:
  - 1
  - 2
...

	.end_amdgpu_metadata
